;; amdgpu-corpus repo=ROCm/rocFFT kind=compiled arch=gfx1030 opt=O3
	.text
	.amdgcn_target "amdgcn-amd-amdhsa--gfx1030"
	.amdhsa_code_object_version 6
	.protected	fft_rtc_fwd_len1980_factors_11_2_3_3_5_2_wgs_198_tpt_198_halfLds_half_op_CI_CI_unitstride_sbrr_R2C_dirReg ; -- Begin function fft_rtc_fwd_len1980_factors_11_2_3_3_5_2_wgs_198_tpt_198_halfLds_half_op_CI_CI_unitstride_sbrr_R2C_dirReg
	.globl	fft_rtc_fwd_len1980_factors_11_2_3_3_5_2_wgs_198_tpt_198_halfLds_half_op_CI_CI_unitstride_sbrr_R2C_dirReg
	.p2align	8
	.type	fft_rtc_fwd_len1980_factors_11_2_3_3_5_2_wgs_198_tpt_198_halfLds_half_op_CI_CI_unitstride_sbrr_R2C_dirReg,@function
fft_rtc_fwd_len1980_factors_11_2_3_3_5_2_wgs_198_tpt_198_halfLds_half_op_CI_CI_unitstride_sbrr_R2C_dirReg: ; @fft_rtc_fwd_len1980_factors_11_2_3_3_5_2_wgs_198_tpt_198_halfLds_half_op_CI_CI_unitstride_sbrr_R2C_dirReg
; %bb.0:
	s_clause 0x2
	s_load_dwordx4 s[12:15], s[4:5], 0x0
	s_load_dwordx4 s[8:11], s[4:5], 0x58
	;; [unrolled: 1-line block ×3, first 2 shown]
	v_mul_u32_u24_e32 v1, 0x14b, v0
	v_mov_b32_e32 v3, 0
	v_mov_b32_e32 v7, 0
	;; [unrolled: 1-line block ×3, first 2 shown]
	v_add_nc_u32_sdwa v9, s6, v1 dst_sel:DWORD dst_unused:UNUSED_PAD src0_sel:DWORD src1_sel:WORD_1
	v_mov_b32_e32 v10, v3
	s_waitcnt lgkmcnt(0)
	v_cmp_lt_u64_e64 s0, s[14:15], 2
	s_and_b32 vcc_lo, exec_lo, s0
	s_cbranch_vccnz .LBB0_8
; %bb.1:
	s_load_dwordx2 s[0:1], s[4:5], 0x10
	v_mov_b32_e32 v7, 0
	v_mov_b32_e32 v8, 0
	s_add_u32 s2, s18, 8
	s_addc_u32 s3, s19, 0
	v_mov_b32_e32 v1, v7
	s_add_u32 s6, s16, 8
	v_mov_b32_e32 v2, v8
	s_addc_u32 s7, s17, 0
	s_mov_b64 s[22:23], 1
	s_waitcnt lgkmcnt(0)
	s_add_u32 s20, s0, 8
	s_addc_u32 s21, s1, 0
.LBB0_2:                                ; =>This Inner Loop Header: Depth=1
	s_load_dwordx2 s[24:25], s[20:21], 0x0
                                        ; implicit-def: $vgpr5_vgpr6
	s_mov_b32 s0, exec_lo
	s_waitcnt lgkmcnt(0)
	v_or_b32_e32 v4, s25, v10
	v_cmpx_ne_u64_e32 0, v[3:4]
	s_xor_b32 s1, exec_lo, s0
	s_cbranch_execz .LBB0_4
; %bb.3:                                ;   in Loop: Header=BB0_2 Depth=1
	v_cvt_f32_u32_e32 v4, s24
	v_cvt_f32_u32_e32 v5, s25
	s_sub_u32 s0, 0, s24
	s_subb_u32 s26, 0, s25
	v_fmac_f32_e32 v4, 0x4f800000, v5
	v_rcp_f32_e32 v4, v4
	v_mul_f32_e32 v4, 0x5f7ffffc, v4
	v_mul_f32_e32 v5, 0x2f800000, v4
	v_trunc_f32_e32 v5, v5
	v_fmac_f32_e32 v4, 0xcf800000, v5
	v_cvt_u32_f32_e32 v5, v5
	v_cvt_u32_f32_e32 v4, v4
	v_mul_lo_u32 v6, s0, v5
	v_mul_hi_u32 v11, s0, v4
	v_mul_lo_u32 v12, s26, v4
	v_add_nc_u32_e32 v6, v11, v6
	v_mul_lo_u32 v11, s0, v4
	v_add_nc_u32_e32 v6, v6, v12
	v_mul_hi_u32 v12, v4, v11
	v_mul_lo_u32 v13, v4, v6
	v_mul_hi_u32 v14, v4, v6
	v_mul_hi_u32 v15, v5, v11
	v_mul_lo_u32 v11, v5, v11
	v_mul_hi_u32 v16, v5, v6
	v_mul_lo_u32 v6, v5, v6
	v_add_co_u32 v12, vcc_lo, v12, v13
	v_add_co_ci_u32_e32 v13, vcc_lo, 0, v14, vcc_lo
	v_add_co_u32 v11, vcc_lo, v12, v11
	v_add_co_ci_u32_e32 v11, vcc_lo, v13, v15, vcc_lo
	v_add_co_ci_u32_e32 v12, vcc_lo, 0, v16, vcc_lo
	v_add_co_u32 v6, vcc_lo, v11, v6
	v_add_co_ci_u32_e32 v11, vcc_lo, 0, v12, vcc_lo
	v_add_co_u32 v4, vcc_lo, v4, v6
	v_add_co_ci_u32_e32 v5, vcc_lo, v5, v11, vcc_lo
	v_mul_hi_u32 v6, s0, v4
	v_mul_lo_u32 v12, s26, v4
	v_mul_lo_u32 v11, s0, v5
	v_add_nc_u32_e32 v6, v6, v11
	v_mul_lo_u32 v11, s0, v4
	v_add_nc_u32_e32 v6, v6, v12
	v_mul_hi_u32 v12, v4, v11
	v_mul_lo_u32 v13, v4, v6
	v_mul_hi_u32 v14, v4, v6
	v_mul_hi_u32 v15, v5, v11
	v_mul_lo_u32 v11, v5, v11
	v_mul_hi_u32 v16, v5, v6
	v_mul_lo_u32 v6, v5, v6
	v_add_co_u32 v12, vcc_lo, v12, v13
	v_add_co_ci_u32_e32 v13, vcc_lo, 0, v14, vcc_lo
	v_add_co_u32 v11, vcc_lo, v12, v11
	v_add_co_ci_u32_e32 v11, vcc_lo, v13, v15, vcc_lo
	v_add_co_ci_u32_e32 v12, vcc_lo, 0, v16, vcc_lo
	v_add_co_u32 v6, vcc_lo, v11, v6
	v_add_co_ci_u32_e32 v11, vcc_lo, 0, v12, vcc_lo
	v_add_co_u32 v6, vcc_lo, v4, v6
	v_add_co_ci_u32_e32 v13, vcc_lo, v5, v11, vcc_lo
	v_mul_hi_u32 v15, v9, v6
	v_mad_u64_u32 v[11:12], null, v10, v6, 0
	v_mad_u64_u32 v[4:5], null, v9, v13, 0
	;; [unrolled: 1-line block ×3, first 2 shown]
	v_add_co_u32 v4, vcc_lo, v15, v4
	v_add_co_ci_u32_e32 v5, vcc_lo, 0, v5, vcc_lo
	v_add_co_u32 v4, vcc_lo, v4, v11
	v_add_co_ci_u32_e32 v4, vcc_lo, v5, v12, vcc_lo
	v_add_co_ci_u32_e32 v5, vcc_lo, 0, v14, vcc_lo
	v_add_co_u32 v11, vcc_lo, v4, v13
	v_add_co_ci_u32_e32 v6, vcc_lo, 0, v5, vcc_lo
	v_mul_lo_u32 v12, s25, v11
	v_mad_u64_u32 v[4:5], null, s24, v11, 0
	v_mul_lo_u32 v13, s24, v6
	v_sub_co_u32 v4, vcc_lo, v9, v4
	v_add3_u32 v5, v5, v13, v12
	v_sub_nc_u32_e32 v12, v10, v5
	v_subrev_co_ci_u32_e64 v12, s0, s25, v12, vcc_lo
	v_add_co_u32 v13, s0, v11, 2
	v_add_co_ci_u32_e64 v14, s0, 0, v6, s0
	v_sub_co_u32 v15, s0, v4, s24
	v_sub_co_ci_u32_e32 v5, vcc_lo, v10, v5, vcc_lo
	v_subrev_co_ci_u32_e64 v12, s0, 0, v12, s0
	v_cmp_le_u32_e32 vcc_lo, s24, v15
	v_cmp_eq_u32_e64 s0, s25, v5
	v_cndmask_b32_e64 v15, 0, -1, vcc_lo
	v_cmp_le_u32_e32 vcc_lo, s25, v12
	v_cndmask_b32_e64 v16, 0, -1, vcc_lo
	v_cmp_le_u32_e32 vcc_lo, s24, v4
	;; [unrolled: 2-line block ×3, first 2 shown]
	v_cndmask_b32_e64 v17, 0, -1, vcc_lo
	v_cmp_eq_u32_e32 vcc_lo, s25, v12
	v_cndmask_b32_e64 v4, v17, v4, s0
	v_cndmask_b32_e32 v12, v16, v15, vcc_lo
	v_add_co_u32 v15, vcc_lo, v11, 1
	v_add_co_ci_u32_e32 v16, vcc_lo, 0, v6, vcc_lo
	v_cmp_ne_u32_e32 vcc_lo, 0, v12
	v_cndmask_b32_e32 v5, v16, v14, vcc_lo
	v_cndmask_b32_e32 v12, v15, v13, vcc_lo
	v_cmp_ne_u32_e32 vcc_lo, 0, v4
	v_cndmask_b32_e32 v6, v6, v5, vcc_lo
	v_cndmask_b32_e32 v5, v11, v12, vcc_lo
.LBB0_4:                                ;   in Loop: Header=BB0_2 Depth=1
	s_andn2_saveexec_b32 s0, s1
	s_cbranch_execz .LBB0_6
; %bb.5:                                ;   in Loop: Header=BB0_2 Depth=1
	v_cvt_f32_u32_e32 v4, s24
	s_sub_i32 s1, 0, s24
	v_rcp_iflag_f32_e32 v4, v4
	v_mul_f32_e32 v4, 0x4f7ffffe, v4
	v_cvt_u32_f32_e32 v4, v4
	v_mul_lo_u32 v5, s1, v4
	v_mul_hi_u32 v5, v4, v5
	v_add_nc_u32_e32 v4, v4, v5
	v_mul_hi_u32 v4, v9, v4
	v_mul_lo_u32 v5, v4, s24
	v_add_nc_u32_e32 v6, 1, v4
	v_sub_nc_u32_e32 v5, v9, v5
	v_subrev_nc_u32_e32 v11, s24, v5
	v_cmp_le_u32_e32 vcc_lo, s24, v5
	v_cndmask_b32_e32 v5, v5, v11, vcc_lo
	v_cndmask_b32_e32 v4, v4, v6, vcc_lo
	v_cmp_le_u32_e32 vcc_lo, s24, v5
	v_add_nc_u32_e32 v6, 1, v4
	v_cndmask_b32_e32 v5, v4, v6, vcc_lo
	v_mov_b32_e32 v6, v3
.LBB0_6:                                ;   in Loop: Header=BB0_2 Depth=1
	s_or_b32 exec_lo, exec_lo, s0
	v_mul_lo_u32 v4, v6, s24
	v_mul_lo_u32 v13, v5, s25
	s_load_dwordx2 s[0:1], s[6:7], 0x0
	v_mad_u64_u32 v[11:12], null, v5, s24, 0
	s_load_dwordx2 s[24:25], s[2:3], 0x0
	s_add_u32 s22, s22, 1
	s_addc_u32 s23, s23, 0
	s_add_u32 s2, s2, 8
	s_addc_u32 s3, s3, 0
	s_add_u32 s6, s6, 8
	v_add3_u32 v4, v12, v13, v4
	v_sub_co_u32 v9, vcc_lo, v9, v11
	s_addc_u32 s7, s7, 0
	s_add_u32 s20, s20, 8
	v_sub_co_ci_u32_e32 v4, vcc_lo, v10, v4, vcc_lo
	s_addc_u32 s21, s21, 0
	s_waitcnt lgkmcnt(0)
	v_mul_lo_u32 v10, s0, v4
	v_mul_lo_u32 v11, s1, v9
	v_mad_u64_u32 v[7:8], null, s0, v9, v[7:8]
	v_mul_lo_u32 v4, s24, v4
	v_mul_lo_u32 v12, s25, v9
	v_mad_u64_u32 v[1:2], null, s24, v9, v[1:2]
	v_cmp_ge_u64_e64 s0, s[22:23], s[14:15]
	v_add3_u32 v8, v11, v8, v10
	v_add3_u32 v2, v12, v2, v4
	s_and_b32 vcc_lo, exec_lo, s0
	s_cbranch_vccnz .LBB0_9
; %bb.7:                                ;   in Loop: Header=BB0_2 Depth=1
	v_mov_b32_e32 v10, v6
	v_mov_b32_e32 v9, v5
	s_branch .LBB0_2
.LBB0_8:
	v_mov_b32_e32 v1, v7
	v_mov_b32_e32 v5, v9
	;; [unrolled: 1-line block ×4, first 2 shown]
.LBB0_9:
	s_load_dwordx2 s[0:1], s[4:5], 0x28
	v_mul_hi_u32 v4, 0x14afd6b, v0
	s_lshl_b64 s[4:5], s[14:15], 3
                                        ; implicit-def: $vgpr3
	s_add_u32 s2, s18, s4
	s_addc_u32 s3, s19, s5
	s_waitcnt lgkmcnt(0)
	v_cmp_gt_u64_e32 vcc_lo, s[0:1], v[5:6]
	v_cmp_le_u64_e64 s0, s[0:1], v[5:6]
	s_and_saveexec_b32 s1, s0
	s_xor_b32 s0, exec_lo, s1
; %bb.10:
	v_mul_u32_u24_e32 v3, 0xc6, v4
                                        ; implicit-def: $vgpr4
                                        ; implicit-def: $vgpr7_vgpr8
	v_sub_nc_u32_e32 v3, v0, v3
                                        ; implicit-def: $vgpr0
; %bb.11:
	s_andn2_saveexec_b32 s1, s0
	s_cbranch_execz .LBB0_13
; %bb.12:
	s_add_u32 s4, s16, s4
	s_addc_u32 s5, s17, s5
	v_lshlrev_b64 v[7:8], 2, v[7:8]
	s_load_dwordx2 s[4:5], s[4:5], 0x0
	s_waitcnt lgkmcnt(0)
	v_mul_lo_u32 v3, s5, v5
	v_mul_lo_u32 v11, s4, v6
	v_mad_u64_u32 v[9:10], null, s4, v5, 0
	v_add3_u32 v10, v10, v11, v3
	v_mul_u32_u24_e32 v3, 0xc6, v4
	v_lshlrev_b64 v[9:10], 2, v[9:10]
	v_sub_nc_u32_e32 v3, v0, v3
	v_lshlrev_b32_e32 v15, 2, v3
	v_add_co_u32 v0, s0, s8, v9
	v_add_co_ci_u32_e64 v4, s0, s9, v10, s0
	v_add_co_u32 v0, s0, v0, v7
	v_add_co_ci_u32_e64 v4, s0, v4, v8, s0
	;; [unrolled: 2-line block ×6, first 2 shown]
	s_clause 0x9
	global_load_dword v0, v[7:8], off
	global_load_dword v4, v[7:8], off offset:792
	global_load_dword v7, v[7:8], off offset:1584
	;; [unrolled: 1-line block ×9, first 2 shown]
	v_add_nc_u32_e32 v14, 0, v15
	v_add_nc_u32_e32 v15, 0x600, v14
	;; [unrolled: 1-line block ×5, first 2 shown]
	s_waitcnt vmcnt(8)
	ds_write2_b32 v14, v0, v4 offset1:198
	s_waitcnt vmcnt(6)
	ds_write2_b32 v15, v7, v8 offset0:12 offset1:210
	s_waitcnt vmcnt(4)
	ds_write2_b32 v17, v16, v9 offset0:24 offset1:222
	;; [unrolled: 2-line block ×4, first 2 shown]
.LBB0_13:
	s_or_b32 exec_lo, exec_lo, s1
	v_lshl_add_u32 v0, v3, 2, 0
	s_waitcnt lgkmcnt(0)
	s_barrier
	buffer_gl0_inv
	v_mov_b32_e32 v44, 0xb853
	ds_read2_b32 v[7:8], v0 offset1:180
	ds_read_b32 v20, v0 offset:7200
	v_add_nc_u32_e32 v4, 0x500, v0
	v_add_nc_u32_e32 v9, 0x1600, v0
	v_add_nc_u32_e32 v11, 0xb00, v0
	v_add_nc_u32_e32 v12, 0x1000, v0
	ds_read2_b32 v[15:16], v4 offset0:40 offset1:220
	ds_read2_b32 v[9:10], v9 offset0:32 offset1:212
	;; [unrolled: 1-line block ×4, first 2 shown]
	v_mov_b32_e32 v47, 0xbb47
	v_mov_b32_e32 v4, 0xbbeb
	;; [unrolled: 1-line block ×4, first 2 shown]
	s_mov_b32 s1, exec_lo
	s_waitcnt lgkmcnt(0)
	s_barrier
	buffer_gl0_inv
	v_pk_add_f16 v19, v8, v20 neg_lo:[0,1] neg_hi:[0,1]
	v_pk_add_f16 v24, v20, v8
	v_pk_add_f16 v28, v10, v15
	v_mul_f16_sdwa v31, v19, v44 dst_sel:DWORD dst_unused:UNUSED_PAD src0_sel:WORD_1 src1_sel:DWORD
	v_lshrrev_b32_e32 v40, 16, v24
	v_mul_f16_e32 v37, 0xb853, v19
	v_pk_add_f16 v25, v15, v10 neg_lo:[0,1] neg_hi:[0,1]
	v_pk_add_f16 v27, v9, v16
	v_pk_add_f16 v22, v16, v9 neg_lo:[0,1] neg_hi:[0,1]
	v_fmamk_f16 v17, v24, 0x3abb, v31
	v_fma_f16 v26, v40, 0x3abb, -v37
	v_mul_f16_sdwa v34, v25, v47 dst_sel:DWORD dst_unused:UNUSED_PAD src0_sel:WORD_1 src1_sel:DWORD
	v_lshrrev_b32_e32 v43, 16, v28
	v_mul_f16_e32 v42, 0xbb47, v25
	v_pk_add_f16 v23, v12, v13
	v_pk_add_f16 v21, v13, v12 neg_lo:[0,1] neg_hi:[0,1]
	v_mul_f16_sdwa v32, v22, v4 dst_sel:DWORD dst_unused:UNUSED_PAD src0_sel:WORD_1 src1_sel:DWORD
	v_lshrrev_b32_e32 v41, 16, v27
	v_mul_f16_e32 v38, 0xbbeb, v22
	v_add_f16_e32 v4, v7, v17
	v_fmamk_f16 v17, v28, 0x36a6, v34
	v_add_f16_sdwa v26, v7, v26 dst_sel:DWORD dst_unused:UNUSED_PAD src0_sel:WORD_1 src1_sel:DWORD
	v_fma_f16 v29, v43, 0x36a6, -v42
	v_pk_add_f16 v18, v14, v11 neg_lo:[0,1] neg_hi:[0,1]
	v_mul_f16_sdwa v30, v21, v46 dst_sel:DWORD dst_unused:UNUSED_PAD src0_sel:WORD_1 src1_sel:DWORD
	v_fmamk_f16 v33, v27, 0xb08e, v32
	v_add_f16_e32 v4, v17, v4
	v_fma_f16 v17, v41, 0xb08e, -v38
	v_add_f16_e32 v29, v29, v26
	v_lshrrev_b32_e32 v39, 16, v23
	v_mul_f16_e32 v35, 0xba0c, v21
	v_pk_add_f16 v26, v11, v14
	v_add_f16_e32 v4, v33, v4
	v_add_f16_e32 v17, v17, v29
	v_fmamk_f16 v48, v23, 0xb93d, v30
	v_fma_f16 v49, v39, 0xb93d, -v35
	v_mul_f16_sdwa v29, v18, v45 dst_sel:DWORD dst_unused:UNUSED_PAD src0_sel:WORD_1 src1_sel:DWORD
	v_lshrrev_b32_e32 v36, 16, v26
	v_mul_f16_e32 v33, 0xb482, v18
	v_add_f16_e32 v4, v48, v4
	v_add_f16_e32 v17, v49, v17
	v_fmamk_f16 v48, v26, 0xbbad, v29
	v_fma_f16 v49, v36, 0xbbad, -v33
	v_add_f16_e32 v4, v48, v4
	v_add_f16_e32 v17, v49, v17
	v_cmpx_gt_u32_e32 0xb4, v3
	s_cbranch_execz .LBB0_15
; %bb.14:
	v_mul_f16_sdwa v47, v19, v47 dst_sel:DWORD dst_unused:UNUSED_PAD src0_sel:WORD_1 src1_sel:DWORD
	v_pk_add_f16 v8, v7, v8
	v_mul_f16_sdwa v48, v25, v46 dst_sel:DWORD dst_unused:UNUSED_PAD src0_sel:WORD_1 src1_sel:DWORD
	v_mov_b32_e32 v49, 0x3482
	v_mov_b32_e32 v50, 0x3beb
	v_fmamk_f16 v51, v24, 0x36a6, v47
	v_pk_add_f16 v8, v8, v15
	v_fmamk_f16 v54, v28, 0xb93d, v48
	v_mul_f16_sdwa v49, v22, v49 dst_sel:DWORD dst_unused:UNUSED_PAD src0_sel:WORD_1 src1_sel:DWORD
	v_mov_b32_e32 v52, 0x3853
	v_add_f16_e32 v51, v7, v51
	v_mul_f16_sdwa v15, v21, v50 dst_sel:DWORD dst_unused:UNUSED_PAD src0_sel:WORD_1 src1_sel:DWORD
	v_pk_add_f16 v8, v8, v16
	v_fmamk_f16 v56, v27, 0xbbad, v49
	v_mul_f16_sdwa v52, v18, v52 dst_sel:DWORD dst_unused:UNUSED_PAD src0_sel:WORD_1 src1_sel:DWORD
	v_add_f16_e32 v51, v54, v51
	v_fmamk_f16 v57, v23, 0xb08e, v15
	v_pk_add_f16 v8, v8, v13
	v_pk_mul_f16 v58, 0xbbad36a6, v27
	v_mul_f16_sdwa v46, v19, v46 dst_sel:DWORD dst_unused:UNUSED_PAD src0_sel:WORD_1 src1_sel:DWORD
	v_add_f16_e32 v51, v56, v51
	v_fmamk_f16 v56, v26, 0x3abb, v52
	v_pk_add_f16 v8, v8, v14
	v_pk_mul_f16 v14, 0x36a6b08e, v24
	v_pk_fma_f16 v62, 0x3b473482, v22, v58 op_sel:[0,0,1] op_sel_hi:[1,1,0]
	v_add_f16_e32 v51, v57, v51
	v_mul_f16_e32 v53, 0xb08e, v40
	v_pk_add_f16 v8, v8, v11
	v_pk_fma_f16 v11, 0xbbebbb47, v19, v14 op_sel:[0,0,1] op_sel_hi:[1,1,0]
	v_mul_f16_sdwa v50, v25, v50 dst_sel:DWORD dst_unused:UNUSED_PAD src0_sel:WORD_1 src1_sel:DWORD
	v_add_f16_e32 v51, v56, v51
	v_pk_mul_f16 v56, 0xb93dbbad, v28
	v_pk_add_f16 v8, v8, v12
	v_alignbit_b32 v12, s0, v11, 16
	v_mul_f16_e32 v55, 0xbbad, v43
	v_fmamk_f16 v16, v19, 0x3beb, v53
	v_pk_fma_f16 v57, 0x3482ba0c, v25, v56 op_sel:[0,0,1] op_sel_hi:[1,1,0]
	v_fmamk_f16 v67, v28, 0xb08e, v50
	v_pk_add_f16 v12, v7, v12
	v_mul_f16_sdwa v44, v22, v44 dst_sel:DWORD dst_unused:UNUSED_PAD src0_sel:WORD_1 src1_sel:DWORD
	v_fma_f16 v50, v28, 0xb08e, -v50
	v_alignbit_b32 v61, s0, v57, 16
	v_mul_f16_e32 v54, 0x36a6, v41
	v_fmamk_f16 v13, v25, 0xb482, v55
	v_add_f16_sdwa v16, v7, v16 dst_sel:DWORD dst_unused:UNUSED_PAD src0_sel:WORD_1 src1_sel:DWORD
	v_mul_f16_sdwa v45, v21, v45 dst_sel:DWORD dst_unused:UNUSED_PAD src0_sel:WORD_1 src1_sel:DWORD
	v_pk_add_f16 v12, v61, v12
	v_alignbit_b32 v61, s0, v62, 16
	v_mul_f16_e32 v60, 0xb93d, v36
	v_add_f16_e32 v13, v13, v16
	v_fmamk_f16 v16, v22, 0xbb47, v54
	v_mul_f16_e32 v63, 0xb93d, v40
	v_pk_add_f16 v12, v61, v12
	v_fmamk_f16 v61, v24, 0xb93d, v46
	v_fma_f16 v46, v24, 0xb93d, -v46
	v_add_f16_e32 v13, v16, v13
	v_mul_f16_e32 v16, 0x3abb, v39
	v_mul_f16_e32 v64, 0xb08e, v43
	v_add_f16_e32 v61, v7, v61
	v_add_f16_e32 v46, v7, v46
	v_mul_f16_e32 v40, 0x3abb, v40
	v_fmamk_f16 v59, v21, 0x3853, v16
	v_fma_f16 v48, v28, 0xb93d, -v48
	v_add_f16_e32 v61, v67, v61
	v_fmamk_f16 v67, v27, 0x3abb, v44
	v_add_f16_e32 v46, v50, v46
	v_fma_f16 v44, v27, 0x3abb, -v44
	v_mul_f16_e32 v43, 0x36a6, v43
	v_add_f16_e32 v13, v59, v13
	v_add_f16_e32 v61, v67, v61
	v_fmamk_f16 v67, v23, 0xbbad, v45
	v_add_f16_e32 v44, v44, v46
	v_fma_f16 v45, v23, 0xbbad, -v45
	v_fmamk_f16 v59, v18, 0x3a0c, v60
	v_add_f16_e32 v37, v37, v40
	v_add_f16_e32 v42, v42, v43
	v_mul_f16_e32 v43, 0x3abb, v24
	v_add_f16_e32 v44, v45, v44
	v_fma_f16 v45, v24, 0x36a6, -v47
	v_add_f16_e32 v13, v59, v13
	v_fmamk_f16 v59, v19, 0x3a0c, v63
	v_mul_f16_e32 v66, 0x3abb, v41
	v_fmac_f16_e32 v63, 0xba0c, v19
	v_add_f16_e32 v45, v7, v45
	v_mul_f16_e32 v41, 0xb08e, v41
	v_sub_f16_e32 v31, v43, v31
	v_add_f16_sdwa v59, v7, v59 dst_sel:DWORD dst_unused:UNUSED_PAD src0_sel:WORD_1 src1_sel:DWORD
	v_fmamk_f16 v65, v25, 0xbbeb, v64
	v_add_f16_e32 v40, v48, v45
	v_fma_f16 v45, v27, 0xbbad, -v49
	v_add_f16_sdwa v63, v7, v63 dst_sel:DWORD dst_unused:UNUSED_PAD src0_sel:WORD_1 src1_sel:DWORD
	v_fmac_f16_e32 v64, 0x3beb, v25
	v_add_f16_sdwa v37, v7, v37 dst_sel:DWORD dst_unused:UNUSED_PAD src0_sel:WORD_1 src1_sel:DWORD
	v_add_f16_e32 v38, v38, v41
	v_add_f16_e32 v40, v45, v40
	v_mul_f16_e32 v45, 0x36a6, v28
	v_mul_f16_e32 v41, 0xb08e, v27
	v_add_f16_e32 v31, v7, v31
	v_add_f16_e32 v59, v65, v59
	v_fmamk_f16 v65, v22, 0x3853, v66
	v_sub_f16_e32 v34, v45, v34
	v_mov_b32_e32 v68, 0x3b47
	v_add_f16_e32 v63, v64, v63
	v_mul_f16_e32 v64, 0xbbad, v39
	v_add_f16_e32 v37, v42, v37
	v_mul_f16_e32 v42, 0xb93d, v23
	v_mul_f16_e32 v39, 0xb93d, v39
	v_add_f16_e32 v31, v34, v31
	v_sub_f16_e32 v32, v41, v32
	v_add_f16_e32 v59, v65, v59
	v_mul_f16_sdwa v65, v18, v68 dst_sel:DWORD dst_unused:UNUSED_PAD src0_sel:WORD_1 src1_sel:DWORD
	v_mul_f16_e32 v68, 0x36a6, v36
	v_pk_fma_f16 v14, 0xbbebbb47, v19, v14 op_sel:[0,0,1] op_sel_hi:[1,1,0] neg_lo:[0,1,0] neg_hi:[0,1,0]
	v_add_f16_e32 v37, v38, v37
	v_mul_f16_e32 v41, 0xbbad, v26
	v_add_f16_e32 v35, v35, v39
	v_add_f16_e32 v31, v32, v31
	v_mul_f16_e32 v36, 0xbbad, v36
	v_sub_f16_e32 v30, v42, v30
	v_pk_add_f16 v8, v8, v9
	v_pk_fma_f16 v43, 0x3482ba0c, v25, v56 op_sel:[0,0,1] op_sel_hi:[1,1,0] neg_lo:[0,1,0] neg_hi:[0,1,0]
	v_fma_f16 v15, v23, 0xb08e, -v15
	v_add_f16_e32 v35, v35, v37
	v_add_f16_e32 v33, v33, v36
	;; [unrolled: 1-line block ×3, first 2 shown]
	v_sub_f16_e32 v9, v41, v29
	v_bfi_b32 v11, 0xffff, v11, v14
	v_pk_add_f16 v8, v8, v10
	v_add_f16_sdwa v38, v7, v14 dst_sel:DWORD dst_unused:UNUSED_PAD src0_sel:WORD_1 src1_sel:DWORD
	v_pk_fma_f16 v45, 0x3b473482, v22, v58 op_sel:[0,0,1] op_sel_hi:[1,1,0] neg_lo:[0,1,0] neg_hi:[0,1,0]
	v_add_f16_e32 v15, v15, v40
	v_fma_f16 v14, v26, 0x3abb, -v52
	v_add_f16_e32 v29, v33, v35
	v_add_f16_e32 v9, v9, v30
	v_pk_add_f16 v10, v7, v11 op_sel:[1,0] op_sel_hi:[0,1]
	v_bfi_b32 v11, 0xffff, v57, v43
	v_pk_add_f16 v8, v8, v20
	v_pk_mul_f16 v20, 0xbbad, v24 op_sel_hi:[0,1]
	v_pk_mul_f16 v34, 0xb08e3abb, v23
	v_alignbit_b32 v40, s0, v7, 16
	v_mad_u32_u24 v30, v3, 40, v0
	v_pack_b32_f16 v9, v9, v29
	v_pk_add_f16 v10, v11, v10
	v_bfi_b32 v11, 0xffff, v62, v45
	v_add_f16_e32 v14, v14, v15
	v_pk_fma_f16 v15, 0xb482, v19, v20 op_sel:[0,0,1] op_sel_hi:[0,1,0] neg_lo:[0,1,0] neg_hi:[0,1,0]
	v_pk_mul_f16 v24, 0x3abb, v28 op_sel_hi:[0,1]
	v_pk_fma_f16 v39, 0xb8533beb, v21, v34 op_sel:[0,0,1] op_sel_hi:[1,1,0] neg_lo:[0,1,0] neg_hi:[0,1,0]
	v_pk_fma_f16 v34, 0xb8533beb, v21, v34 op_sel:[0,0,1] op_sel_hi:[1,1,0]
	v_fmac_f16_e32 v53, 0xbbeb, v19
	ds_write2_b32 v30, v8, v9 offset1:1
	v_pk_add_f16 v8, v11, v10
	v_pk_add_f16 v10, v40, v15
	v_pk_fma_f16 v11, 0x3853, v25, v24 op_sel:[0,0,1] op_sel_hi:[0,1,0] neg_lo:[0,1,0] neg_hi:[0,1,0]
	v_pk_mul_f16 v27, 0xb93d, v27 op_sel_hi:[0,1]
	v_pk_fma_f16 v19, 0xb482, v19, v20 op_sel:[0,0,1] op_sel_hi:[0,1,0]
	v_alignbit_b32 v15, s0, v15, 16
	v_pk_mul_f16 v32, 0x3abbb93d, v26
	v_bfi_b32 v9, 0xffff, v34, v39
	v_add_f16_sdwa v53, v7, v53 dst_sel:DWORD dst_unused:UNUSED_PAD src0_sel:WORD_1 src1_sel:DWORD
	v_pk_add_f16 v10, v11, v10
	v_pk_fma_f16 v20, 0xba0c, v22, v27 op_sel:[0,0,1] op_sel_hi:[0,1,0] neg_lo:[0,1,0] neg_hi:[0,1,0]
	v_pk_add_f16 v19, v7, v19 op_sel:[1,0] op_sel_hi:[0,1]
	v_pk_fma_f16 v24, 0x3853, v25, v24 op_sel:[0,0,1] op_sel_hi:[0,1,0]
	v_pk_add_f16 v7, v7, v15
	v_alignbit_b32 v11, s0, v11, 16
	v_fmac_f16_e32 v55, 0x3482, v25
	v_pk_fma_f16 v42, 0xba0c3853, v18, v32 op_sel:[0,0,1] op_sel_hi:[1,1,0] neg_lo:[0,1,0] neg_hi:[0,1,0]
	v_pk_add_f16 v8, v9, v8
	v_pk_fma_f16 v9, 0xba0c3853, v18, v32 op_sel:[0,0,1] op_sel_hi:[1,1,0]
	v_pk_mul_f16 v23, 0x36a6, v23 op_sel_hi:[0,1]
	v_fmac_f16_e32 v66, 0xb853, v22
	v_fmac_f16_e32 v54, 0x3b47, v22
	v_pk_add_f16 v19, v24, v19
	v_pk_fma_f16 v22, 0xba0c, v22, v27 op_sel:[0,0,1] op_sel_hi:[0,1,0]
	v_pk_add_f16 v7, v11, v7
	v_alignbit_b32 v11, s0, v20, 16
	v_add_f16_e32 v53, v55, v53
	v_bfi_b32 v9, 0xffff, v9, v42
	v_pk_add_f16 v10, v20, v10
	v_pk_fma_f16 v15, 0x3b47, v21, v23 op_sel:[0,0,1] op_sel_hi:[0,1,0] neg_lo:[0,1,0] neg_hi:[0,1,0]
	v_pk_mul_f16 v24, 0xb08e, v26 op_sel_hi:[0,1]
	v_add_f16_e32 v63, v66, v63
	v_fmamk_f16 v66, v21, 0x3482, v64
	v_fmac_f16_e32 v64, 0xb482, v21
	v_fmac_f16_e32 v16, 0xb853, v21
	v_pk_mul_f16 v37, 0xba0c3853, v18
	v_mul_f16_e32 v36, 0x3b47, v18
	v_pk_add_f16 v19, v22, v19
	v_pk_fma_f16 v21, 0x3b47, v21, v23 op_sel:[0,0,1] op_sel_hi:[0,1,0]
	v_pk_add_f16 v7, v11, v7
	v_lshlrev_b32_e32 v11, 16, v12
	v_add_f16_e32 v38, v43, v38
	v_add_f16_e32 v53, v54, v53
	v_pk_add_f16 v8, v9, v8
	v_pk_add_f16 v9, v15, v10
	v_pk_fma_f16 v10, 0xbbeb, v18, v24 op_sel:[0,0,1] op_sel_hi:[0,1,0] neg_lo:[0,1,0] neg_hi:[0,1,0]
	v_alignbit_b32 v12, s0, v15, 16
	v_pk_add_f16 v19, v21, v19
	v_pack_b32_f16 v15, v66, v32
	v_bfi_b32 v20, 0xffff, v59, v37
	v_pk_add_f16 v21, v68, v36 neg_lo:[0,1] neg_hi:[0,1]
	v_pk_add_f16 v11, v34, v11
	v_add_f16_e32 v38, v45, v38
	v_add_f16_e32 v16, v16, v53
	v_fmac_f16_e32 v60, 0xba0c, v18
	v_add_f16_e32 v50, v64, v63
	v_fmamk_f16 v55, v18, 0x3b47, v68
	v_fma_f16 v47, v26, 0x36a6, -v65
	v_pk_fma_f16 v18, 0xbbeb, v18, v24 op_sel:[0,0,1] op_sel_hi:[0,1,0]
	v_pk_add_f16 v7, v12, v7
	v_alignbit_b32 v12, s0, v10, 16
	v_add_f16_e32 v61, v67, v61
	v_fmamk_f16 v67, v26, 0x36a6, v65
	v_pk_add_f16 v15, v15, v20
	v_bfi_b32 v11, 0xffff, v21, v11
	v_add_f16_e32 v38, v39, v38
	v_add_f16_e32 v16, v60, v16
	;; [unrolled: 1-line block ×4, first 2 shown]
	v_pk_add_f16 v9, v10, v9
	v_pk_add_f16 v10, v18, v19
	;; [unrolled: 1-line block ×3, first 2 shown]
	v_add_f16_e32 v46, v67, v61
	v_pk_add_f16 v11, v11, v15
	v_add_f16_e32 v38, v42, v38
	v_alignbit_b32 v16, v16, v8, 16
	v_pack_b32_f16 v8, v14, v8
	v_pack_b32_f16 v12, v44, v50
	v_alignbit_b32 v9, v9, v10, 16
	v_pack_b32_f16 v7, v7, v10
	v_alignbit_b32 v10, v13, v11, 16
	v_pack_b32_f16 v11, v46, v11
	v_pack_b32_f16 v13, v51, v38
	v_perm_b32 v14, v17, v4, 0x5040100
	ds_write2_b32 v30, v8, v16 offset0:2 offset1:3
	ds_write_b32 v30, v12 offset:16
	ds_write2_b32 v30, v7, v9 offset0:5 offset1:6
	ds_write2_b32 v30, v11, v10 offset0:7 offset1:8
	;; [unrolled: 1-line block ×3, first 2 shown]
.LBB0_15:
	s_or_b32 exec_lo, exec_lo, s1
	v_and_b32_e32 v19, 0xff, v3
	v_add_nc_u32_e32 v9, 0x318, v3
	v_mov_b32_e32 v10, 0xba2f
	v_add_nc_u32_e32 v13, 0x252, v3
	v_add_nc_u32_e32 v18, 0x18c, v3
	v_mul_lo_u16 v7, 0x75, v19
	v_add_nc_u32_e32 v16, 0xc6, v3
	v_mul_u32_u24_sdwa v11, v9, v10 dst_sel:DWORD dst_unused:UNUSED_PAD src0_sel:WORD_0 src1_sel:DWORD
	v_mul_u32_u24_sdwa v24, v13, v10 dst_sel:DWORD dst_unused:UNUSED_PAD src0_sel:WORD_0 src1_sel:DWORD
	;; [unrolled: 1-line block ×3, first 2 shown]
	v_lshrrev_b16 v7, 8, v7
	v_mul_u32_u24_sdwa v28, v16, v10 dst_sel:DWORD dst_unused:UNUSED_PAD src0_sel:WORD_0 src1_sel:DWORD
	v_lshrrev_b32_e32 v14, 19, v11
	v_lshrrev_b32_e32 v15, 19, v24
	;; [unrolled: 1-line block ×3, first 2 shown]
	v_sub_nc_u16 v8, v3, v7
	v_lshrrev_b32_e32 v29, 19, v28
	v_mov_b32_e32 v20, 2
	s_load_dwordx2 s[2:3], s[2:3], 0x0
	v_mul_lo_u16 v10, v23, 11
	v_lshrrev_b16 v8, 1, v8
	v_mul_lo_u16 v11, v29, 11
	s_waitcnt lgkmcnt(0)
	s_barrier
	buffer_gl0_inv
	v_and_b32_e32 v8, 0x7f, v8
	v_add_nc_u32_e32 v21, 0xc00, v0
	v_mov_b32_e32 v41, 0x58
	v_add_nc_u32_e32 v25, 0x600, v0
	v_mul_u32_u24_e32 v29, 0x58, v29
	v_add_nc_u16 v7, v8, v7
	v_mul_lo_u16 v8, v15, 11
	v_mul_u32_u24_e32 v23, 0x58, v23
	v_mul_u32_u24_e32 v15, 0x58, v15
	v_add_nc_u32_e32 v42, 0xa00, v0
	v_lshrrev_b16 v30, 3, v7
	v_mul_lo_u16 v7, v14, 11
	v_sub_nc_u16 v8, v13, v8
	v_mul_u32_u24_e32 v14, 0x58, v14
	v_add_nc_u32_e32 v43, 0x1400, v0
	v_mul_lo_u16 v12, v30, 11
	v_sub_nc_u16 v7, v9, v7
	v_sub_nc_u16 v9, v18, v10
	v_sub_nc_u16 v10, v16, v11
	v_lshlrev_b32_sdwa v32, v20, v8 dst_sel:DWORD dst_unused:UNUSED_PAD src0_sel:DWORD src1_sel:WORD_0
	v_sub_nc_u16 v11, v3, v12
	v_lshlrev_b32_sdwa v31, v20, v7 dst_sel:DWORD dst_unused:UNUSED_PAD src0_sel:DWORD src1_sel:WORD_0
	v_lshlrev_b32_sdwa v33, v20, v9 dst_sel:DWORD dst_unused:UNUSED_PAD src0_sel:DWORD src1_sel:WORD_0
	;; [unrolled: 1-line block ×3, first 2 shown]
	v_add_nc_u32_e32 v9, 0x1800, v0
	v_lshlrev_b32_sdwa v35, v20, v11 dst_sel:DWORD dst_unused:UNUSED_PAD src0_sel:DWORD src1_sel:BYTE_0
	s_clause 0x4
	global_load_dword v36, v31, s[12:13]
	global_load_dword v37, v32, s[12:13]
	;; [unrolled: 1-line block ×5, first 2 shown]
	v_add_nc_u32_e32 v11, 0x1200, v0
	ds_read2_b32 v[21:22], v21 offset0:24 offset1:222
	ds_read2_b32 v[9:10], v9 offset0:48 offset1:246
	ds_read2_b32 v[7:8], v0 offset1:198
	v_mul_u32_u24_sdwa v30, v30, v41 dst_sel:DWORD dst_unused:UNUSED_PAD src0_sel:WORD_0 src1_sel:DWORD
	ds_read2_b32 v[11:12], v11 offset0:36 offset1:234
	ds_read2_b32 v[25:26], v25 offset0:12 offset1:210
	v_add3_u32 v29, 0, v29, v34
	v_add3_u32 v23, 0, v23, v33
	;; [unrolled: 1-line block ×5, first 2 shown]
	s_waitcnt vmcnt(0) lgkmcnt(0)
	s_barrier
	buffer_gl0_inv
	v_cmp_gt_u32_e64 s0, 0x42, v3
	v_pk_mul_f16 v14, v36, v10 op_sel:[0,1]
	v_pk_mul_f16 v32, v37, v9 op_sel:[0,1]
	;; [unrolled: 1-line block ×5, first 2 shown]
	v_pk_fma_f16 v41, v36, v10, v14 op_sel:[0,0,1] op_sel_hi:[1,1,0] neg_lo:[0,0,1] neg_hi:[0,0,1]
	v_pk_fma_f16 v44, v37, v9, v32 op_sel:[0,0,1] op_sel_hi:[1,1,0] neg_lo:[0,0,1] neg_hi:[0,0,1]
	;; [unrolled: 1-line block ×5, first 2 shown]
	v_pk_fma_f16 v22, v40, v22, v35 op_sel:[0,0,1] op_sel_hi:[1,0,0]
	v_pk_fma_f16 v11, v39, v11, v34 op_sel:[0,0,1] op_sel_hi:[1,0,0]
	;; [unrolled: 1-line block ×5, first 2 shown]
	v_bfi_b32 v14, 0xffff, v47, v22
	v_bfi_b32 v11, 0xffff, v46, v11
	;; [unrolled: 1-line block ×5, first 2 shown]
	v_pk_add_f16 v22, v7, v14 neg_lo:[0,1] neg_hi:[0,1]
	v_pk_add_f16 v11, v8, v11 neg_lo:[0,1] neg_hi:[0,1]
	;; [unrolled: 1-line block ×5, first 2 shown]
	v_pk_fma_f16 v7, v7, 2.0, v22 op_sel_hi:[1,0,1] neg_lo:[0,0,1] neg_hi:[0,0,1]
	v_pk_fma_f16 v8, v8, 2.0, v11 op_sel_hi:[1,0,1] neg_lo:[0,0,1] neg_hi:[0,0,1]
	;; [unrolled: 1-line block ×5, first 2 shown]
	ds_write2_b32 v30, v7, v22 offset1:11
	ds_write2_b32 v29, v8, v11 offset1:11
	;; [unrolled: 1-line block ×5, first 2 shown]
	s_waitcnt lgkmcnt(0)
	s_barrier
	buffer_gl0_inv
	ds_read2_b32 v[7:8], v0 offset1:198
	ds_read2_b32 v[11:12], v42 offset0:20 offset1:218
	ds_read2_b32 v[9:10], v43 offset0:40 offset1:238
	ds_read_b32 v22, v0 offset:1584
	ds_read_b32 v23, v0 offset:4224
	;; [unrolled: 1-line block ×3, first 2 shown]
	v_lshrrev_b32_e32 v15, 16, v14
                                        ; implicit-def: $vgpr26
                                        ; implicit-def: $vgpr25
	s_and_saveexec_b32 s1, s0
	s_cbranch_execz .LBB0_17
; %bb.16:
	ds_read_b32 v14, v0 offset:2376
	ds_read_b32 v25, v0 offset:7656
	;; [unrolled: 1-line block ×3, first 2 shown]
	s_waitcnt lgkmcnt(2)
	v_lshrrev_b32_e32 v15, 16, v14
	s_waitcnt lgkmcnt(1)
	v_lshrrev_b32_e32 v26, 16, v25
	;; [unrolled: 2-line block ×3, first 2 shown]
.LBB0_17:
	s_or_b32 exec_lo, exec_lo, s1
	v_lshrrev_b16 v29, 1, v3
	v_lshrrev_b32_e32 v37, 20, v28
	v_lshrrev_b32_e32 v38, 20, v27
	v_mov_b32_e32 v32, 3
	v_lshrrev_b32_e32 v24, 20, v24
	v_and_b32_e32 v29, 0x7f, v29
	v_mul_lo_u16 v27, v37, 22
	v_mov_b32_e32 v50, 0x108
	s_waitcnt lgkmcnt(4)
	v_lshrrev_b32_e32 v45, 16, v11
	v_mul_lo_u16 v30, v24, 22
	v_mul_lo_u16 v29, 0xbb, v29
	v_sub_nc_u16 v40, v16, v27
	s_waitcnt lgkmcnt(3)
	v_lshrrev_b32_e32 v46, 16, v9
	v_mul_u32_u24_e32 v37, 0x108, v37
	v_lshrrev_b32_e32 v47, 16, v12
	v_lshrrev_b16 v36, 11, v29
	v_lshlrev_b32_sdwa v31, v32, v40 dst_sel:DWORD dst_unused:UNUSED_PAD src0_sel:DWORD src1_sel:WORD_0
	v_lshlrev_b32_sdwa v40, v20, v40 dst_sel:DWORD dst_unused:UNUSED_PAD src0_sel:DWORD src1_sel:WORD_0
	v_lshrrev_b32_e32 v48, 16, v10
	s_waitcnt lgkmcnt(1)
	v_lshrrev_b32_e32 v49, 16, v23
	v_mul_lo_u16 v28, v36, 22
	v_mul_u32_u24_sdwa v36, v36, v50 dst_sel:DWORD dst_unused:UNUSED_PAD src0_sel:WORD_0 src1_sel:DWORD
	s_waitcnt lgkmcnt(0)
	v_lshrrev_b32_e32 v51, 16, v21
	v_add3_u32 v37, 0, v37, v40
	v_lshrrev_b32_e32 v42, 16, v7
	v_sub_nc_u16 v39, v3, v28
	v_mul_lo_u16 v28, v38, 22
	v_mul_u32_u24_e32 v38, 0x108, v38
	v_lshrrev_b32_e32 v43, 16, v8
	v_lshrrev_b32_e32 v44, 16, v22
	v_lshlrev_b32_sdwa v27, v32, v39 dst_sel:DWORD dst_unused:UNUSED_PAD src0_sel:DWORD src1_sel:BYTE_0
	v_sub_nc_u16 v41, v18, v28
	global_load_dwordx2 v[28:29], v27, s[12:13] offset:44
	v_sub_nc_u16 v27, v13, v30
	v_lshlrev_b32_sdwa v33, v32, v41 dst_sel:DWORD dst_unused:UNUSED_PAD src0_sel:DWORD src1_sel:WORD_0
	global_load_dwordx2 v[30:31], v31, s[12:13] offset:44
	v_lshlrev_b32_sdwa v41, v20, v41 dst_sel:DWORD dst_unused:UNUSED_PAD src0_sel:DWORD src1_sel:WORD_0
	v_lshlrev_b32_sdwa v20, v20, v39 dst_sel:DWORD dst_unused:UNUSED_PAD src0_sel:DWORD src1_sel:BYTE_0
	v_lshlrev_b32_sdwa v34, v32, v27 dst_sel:DWORD dst_unused:UNUSED_PAD src0_sel:DWORD src1_sel:WORD_0
	s_clause 0x1
	global_load_dwordx2 v[32:33], v33, s[12:13] offset:44
	global_load_dwordx2 v[34:35], v34, s[12:13] offset:44
	v_add3_u32 v38, 0, v38, v41
	v_add3_u32 v36, 0, v36, v20
	s_waitcnt vmcnt(0)
	s_barrier
	buffer_gl0_inv
	v_mul_f16_sdwa v20, v28, v45 dst_sel:DWORD dst_unused:UNUSED_PAD src0_sel:WORD_1 src1_sel:DWORD
	v_mul_f16_sdwa v39, v28, v11 dst_sel:DWORD dst_unused:UNUSED_PAD src0_sel:WORD_1 src1_sel:DWORD
	;; [unrolled: 1-line block ×8, first 2 shown]
	v_fma_f16 v11, v28, v11, -v20
	v_mul_f16_sdwa v55, v32, v49 dst_sel:DWORD dst_unused:UNUSED_PAD src0_sel:WORD_1 src1_sel:DWORD
	v_mul_f16_sdwa v56, v32, v23 dst_sel:DWORD dst_unused:UNUSED_PAD src0_sel:WORD_1 src1_sel:DWORD
	;; [unrolled: 1-line block ×4, first 2 shown]
	v_mul_f16_sdwa v59, v17, v34 dst_sel:DWORD dst_unused:UNUSED_PAD src0_sel:DWORD src1_sel:WORD_1
	v_mul_f16_sdwa v60, v4, v34 dst_sel:DWORD dst_unused:UNUSED_PAD src0_sel:DWORD src1_sel:WORD_1
	;; [unrolled: 1-line block ×4, first 2 shown]
	v_fmac_f16_e32 v39, v28, v45
	v_fma_f16 v9, v29, v9, -v40
	v_fmac_f16_e32 v41, v29, v46
	v_fma_f16 v12, v30, v12, -v50
	;; [unrolled: 2-line block ×7, first 2 shown]
	v_fmac_f16_e32 v62, v26, v35
	v_add_f16_e32 v25, v11, v9
	v_add_f16_e32 v29, v39, v41
	;; [unrolled: 1-line block ×4, first 2 shown]
	v_sub_f16_e32 v26, v39, v41
	v_add_f16_e32 v28, v42, v39
	v_add_f16_e32 v39, v20, v21
	;; [unrolled: 1-line block ×4, first 2 shown]
	v_sub_f16_e32 v11, v11, v9
	v_add_f16_e32 v30, v8, v12
	v_add_f16_e32 v33, v43, v52
	;; [unrolled: 1-line block ×4, first 2 shown]
	v_fma_f16 v7, -0.5, v25, v7
	v_fmac_f16_e32 v42, -0.5, v29
	v_sub_f16_e32 v32, v52, v54
	v_sub_f16_e32 v12, v12, v10
	v_fmac_f16_e32 v8, -0.5, v31
	v_fmac_f16_e32 v43, -0.5, v34
	v_add_f16_e32 v35, v22, v20
	v_sub_f16_e32 v40, v56, v58
	v_add_f16_e32 v45, v44, v56
	v_sub_f16_e32 v20, v20, v21
	v_fmac_f16_e32 v22, -0.5, v39
	v_fmac_f16_e32 v44, -0.5, v46
	v_add_f16_e32 v47, v14, v4
	v_sub_f16_e32 v49, v60, v62
	v_add_f16_e32 v50, v15, v60
	v_sub_f16_e32 v52, v4, v17
	v_add_f16_e32 v9, v23, v9
	v_add_f16_e32 v23, v28, v41
	;; [unrolled: 1-line block ×4, first 2 shown]
	v_fmac_f16_e32 v14, -0.5, v48
	v_fmac_f16_e32 v15, -0.5, v51
	v_fmamk_f16 v30, v26, 0x3aee, v7
	v_fmac_f16_e32 v7, 0xbaee, v26
	v_fmamk_f16 v26, v11, 0xbaee, v42
	v_fmac_f16_e32 v42, 0x3aee, v11
	v_fmamk_f16 v11, v32, 0x3aee, v8
	v_fmamk_f16 v31, v12, 0xbaee, v43
	v_fmac_f16_e32 v8, 0xbaee, v32
	v_fmac_f16_e32 v43, 0x3aee, v12
	v_add_f16_e32 v28, v35, v21
	v_add_f16_e32 v29, v45, v58
	v_fmamk_f16 v12, v40, 0x3aee, v22
	v_fmamk_f16 v32, v20, 0xbaee, v44
	v_add_f16_e32 v4, v47, v17
	v_add_f16_e32 v17, v50, v62
	v_fmac_f16_e32 v22, 0xbaee, v40
	v_fmac_f16_e32 v44, 0x3aee, v20
	v_fmamk_f16 v20, v49, 0x3aee, v14
	v_fmac_f16_e32 v14, 0xbaee, v49
	v_fmamk_f16 v21, v52, 0xbaee, v15
	v_fmac_f16_e32 v15, 0x3aee, v52
	v_pack_b32_f16 v9, v9, v23
	v_pack_b32_f16 v10, v10, v25
	;; [unrolled: 1-line block ×9, first 2 shown]
	ds_write2_b32 v36, v9, v25 offset1:22
	ds_write_b32 v36, v7 offset:176
	ds_write2_b32 v37, v10, v11 offset1:22
	ds_write_b32 v37, v8 offset:176
	;; [unrolled: 2-line block ×3, first 2 shown]
	s_and_saveexec_b32 s1, s0
	s_cbranch_execz .LBB0_19
; %bb.18:
	v_mov_b32_e32 v7, 2
	v_mul_lo_u16 v8, 0x42, v24
	v_perm_b32 v10, v21, v20, 0x5040100
	v_lshlrev_b32_sdwa v9, v7, v27 dst_sel:DWORD dst_unused:UNUSED_PAD src0_sel:DWORD src1_sel:WORD_0
	v_lshlrev_b32_sdwa v7, v7, v8 dst_sel:DWORD dst_unused:UNUSED_PAD src0_sel:DWORD src1_sel:WORD_0
	v_perm_b32 v8, v17, v4, 0x5040100
	v_add3_u32 v7, 0, v9, v7
	v_perm_b32 v9, v15, v14, 0x5040100
	ds_write2_b32 v7, v8, v10 offset1:22
	ds_write_b32 v7, v9 offset:176
.LBB0_19:
	s_or_b32 exec_lo, exec_lo, s1
	v_add_nc_u32_e32 v9, 0xa00, v0
	v_add_nc_u32_e32 v10, 0x1400, v0
	s_waitcnt lgkmcnt(0)
	s_barrier
	buffer_gl0_inv
	ds_read2_b32 v[7:8], v0 offset1:198
	ds_read2_b32 v[11:12], v9 offset0:20 offset1:218
	ds_read2_b32 v[9:10], v10 offset0:40 offset1:238
	ds_read_b32 v22, v0 offset:1584
	ds_read_b32 v24, v0 offset:4224
	;; [unrolled: 1-line block ×3, first 2 shown]
	s_and_saveexec_b32 s1, s0
	s_cbranch_execz .LBB0_21
; %bb.20:
	ds_read_b32 v4, v0 offset:2376
	ds_read_b32 v14, v0 offset:7656
	;; [unrolled: 1-line block ×3, first 2 shown]
	s_waitcnt lgkmcnt(2)
	v_lshrrev_b32_e32 v17, 16, v4
	s_waitcnt lgkmcnt(1)
	v_lshrrev_b32_e32 v15, 16, v14
	;; [unrolled: 2-line block ×3, first 2 shown]
.LBB0_21:
	s_or_b32 exec_lo, exec_lo, s1
	v_mul_lo_u16 v25, 0xf9, v19
	v_mov_b32_e32 v19, 0xf83f
	v_mov_b32_e32 v27, 3
	;; [unrolled: 1-line block ×4, first 2 shown]
	v_lshrrev_b16 v31, 14, v25
	v_mul_u32_u24_sdwa v25, v16, v19 dst_sel:DWORD dst_unused:UNUSED_PAD src0_sel:WORD_0 src1_sel:DWORD
	v_mul_u32_u24_sdwa v28, v18, v19 dst_sel:DWORD dst_unused:UNUSED_PAD src0_sel:WORD_0 src1_sel:DWORD
	s_waitcnt lgkmcnt(4)
	v_lshrrev_b32_e32 v38, 16, v11
	s_waitcnt lgkmcnt(3)
	v_lshrrev_b32_e32 v41, 16, v9
	v_mul_lo_u16 v26, 0x42, v31
	v_lshrrev_b32_e32 v32, 22, v25
	v_lshrrev_b32_e32 v34, 22, v28
	v_mul_u32_u24_sdwa v31, v31, v39 dst_sel:DWORD dst_unused:UNUSED_PAD src0_sel:WORD_0 src1_sel:DWORD
	v_lshrrev_b32_e32 v42, 16, v12
	v_sub_nc_u16 v33, v3, v26
	v_mul_lo_u16 v25, 0x42, v32
	v_mul_lo_u16 v28, 0x42, v34
	v_mul_u32_u24_e32 v32, 0x318, v32
	v_lshrrev_b32_e32 v43, 16, v10
	v_lshlrev_b32_sdwa v26, v27, v33 dst_sel:DWORD dst_unused:UNUSED_PAD src0_sel:DWORD src1_sel:BYTE_0
	v_sub_nc_u16 v16, v16, v25
	v_sub_nc_u16 v18, v18, v28
	v_lshlrev_b32_sdwa v33, v40, v33 dst_sel:DWORD dst_unused:UNUSED_PAD src0_sel:DWORD src1_sel:BYTE_0
	s_waitcnt lgkmcnt(1)
	v_lshrrev_b32_e32 v39, 16, v24
	global_load_dwordx2 v[25:26], v26, s[12:13] offset:220
	v_lshlrev_b32_sdwa v28, v27, v16 dst_sel:DWORD dst_unused:UNUSED_PAD src0_sel:DWORD src1_sel:WORD_0
	v_lshlrev_b32_sdwa v29, v27, v18 dst_sel:DWORD dst_unused:UNUSED_PAD src0_sel:DWORD src1_sel:WORD_0
	;; [unrolled: 1-line block ×3, first 2 shown]
	s_waitcnt lgkmcnt(0)
	v_lshrrev_b32_e32 v44, 16, v23
	s_clause 0x1
	global_load_dwordx2 v[27:28], v28, s[12:13] offset:220
	global_load_dwordx2 v[29:30], v29, s[12:13] offset:220
	v_mul_u32_u24_e32 v34, 0x318, v34
	v_add3_u32 v31, 0, v31, v33
	v_lshlrev_b32_sdwa v18, v40, v18 dst_sel:DWORD dst_unused:UNUSED_PAD src0_sel:DWORD src1_sel:WORD_0
	v_add3_u32 v16, 0, v32, v16
	v_lshrrev_b32_e32 v35, 16, v7
	v_lshrrev_b32_e32 v36, 16, v8
	;; [unrolled: 1-line block ×3, first 2 shown]
	v_add3_u32 v18, 0, v34, v18
	s_waitcnt vmcnt(0)
	s_barrier
	buffer_gl0_inv
	v_mul_f16_sdwa v32, v25, v38 dst_sel:DWORD dst_unused:UNUSED_PAD src0_sel:WORD_1 src1_sel:DWORD
	v_mul_f16_sdwa v33, v25, v11 dst_sel:DWORD dst_unused:UNUSED_PAD src0_sel:WORD_1 src1_sel:DWORD
	;; [unrolled: 1-line block ×5, first 2 shown]
	v_fma_f16 v11, v25, v11, -v32
	v_fmac_f16_e32 v33, v25, v38
	v_fma_f16 v9, v26, v9, -v40
	v_fmac_f16_e32 v45, v26, v41
	v_mul_f16_sdwa v25, v27, v42 dst_sel:DWORD dst_unused:UNUSED_PAD src0_sel:WORD_1 src1_sel:DWORD
	v_mul_f16_sdwa v26, v27, v12 dst_sel:DWORD dst_unused:UNUSED_PAD src0_sel:WORD_1 src1_sel:DWORD
	;; [unrolled: 1-line block ×7, first 2 shown]
	v_fma_f16 v12, v27, v12, -v25
	v_fmac_f16_e32 v26, v27, v42
	v_fma_f16 v10, v28, v10, -v32
	v_fmac_f16_e32 v34, v28, v43
	;; [unrolled: 2-line block ×4, first 2 shown]
	v_add_f16_e32 v25, v7, v11
	v_add_f16_e32 v27, v11, v9
	;; [unrolled: 1-line block ×4, first 2 shown]
	v_sub_f16_e32 v28, v33, v45
	v_sub_f16_e32 v11, v11, v9
	v_add_f16_e32 v9, v25, v9
	v_fma_f16 v7, -0.5, v27, v7
	v_add_f16_e32 v25, v29, v45
	v_fmac_f16_e32 v35, -0.5, v30
	v_add_f16_e32 v29, v12, v10
	v_sub_f16_e32 v30, v26, v34
	v_add_f16_e32 v32, v36, v26
	v_add_f16_e32 v26, v26, v34
	;; [unrolled: 1-line block ×3, first 2 shown]
	v_sub_f16_e32 v39, v40, v46
	v_add_f16_e32 v41, v37, v40
	v_add_f16_e32 v40, v40, v46
	;; [unrolled: 1-line block ×3, first 2 shown]
	v_sub_f16_e32 v12, v12, v10
	v_fmamk_f16 v42, v28, 0x3aee, v7
	v_fmac_f16_e32 v7, 0xbaee, v28
	v_fmamk_f16 v28, v11, 0xbaee, v35
	v_fmac_f16_e32 v8, -0.5, v29
	v_fmac_f16_e32 v36, -0.5, v26
	v_add_f16_e32 v33, v22, v24
	v_sub_f16_e32 v24, v24, v23
	v_fmac_f16_e32 v22, -0.5, v38
	v_fmac_f16_e32 v37, -0.5, v40
	v_fmac_f16_e32 v35, 0x3aee, v11
	v_add_f16_e32 v10, v27, v10
	v_add_f16_e32 v11, v32, v34
	v_pack_b32_f16 v9, v9, v25
	v_fmamk_f16 v25, v30, 0x3aee, v8
	v_fmamk_f16 v27, v12, 0xbaee, v36
	v_pack_b32_f16 v28, v42, v28
	v_fmac_f16_e32 v8, 0xbaee, v30
	v_fmac_f16_e32 v36, 0x3aee, v12
	v_add_f16_e32 v23, v33, v23
	v_add_f16_e32 v26, v41, v46
	v_fmamk_f16 v12, v39, 0x3aee, v22
	v_fmamk_f16 v29, v24, 0xbaee, v37
	v_fmac_f16_e32 v22, 0xbaee, v39
	v_fmac_f16_e32 v37, 0x3aee, v24
	v_pack_b32_f16 v7, v7, v35
	v_pack_b32_f16 v10, v10, v11
	ds_write2_b32 v31, v9, v28 offset1:66
	v_pack_b32_f16 v9, v25, v27
	v_pack_b32_f16 v8, v8, v36
	;; [unrolled: 1-line block ×5, first 2 shown]
	ds_write_b32 v31, v7 offset:528
	ds_write2_b32 v16, v10, v9 offset1:66
	ds_write_b32 v16, v8 offset:528
	ds_write2_b32 v18, v11, v12 offset1:66
	ds_write_b32 v18, v22 offset:528
	s_and_saveexec_b32 s1, s0
	s_cbranch_execz .LBB0_23
; %bb.22:
	v_mul_u32_u24_sdwa v7, v13, v19 dst_sel:DWORD dst_unused:UNUSED_PAD src0_sel:WORD_0 src1_sel:DWORD
	v_lshrrev_b32_e32 v7, 22, v7
	v_mul_lo_u16 v7, 0x42, v7
	v_sub_nc_u16 v7, v13, v7
	v_and_b32_e32 v9, 0xffff, v7
	v_lshlrev_b32_e32 v7, 3, v9
	v_lshl_add_u32 v9, v9, 2, 0
	global_load_dwordx2 v[7:8], v7, s[12:13] offset:220
	s_waitcnt vmcnt(0)
	v_mul_f16_sdwa v10, v14, v8 dst_sel:DWORD dst_unused:UNUSED_PAD src0_sel:DWORD src1_sel:WORD_1
	v_mul_f16_sdwa v11, v20, v7 dst_sel:DWORD dst_unused:UNUSED_PAD src0_sel:DWORD src1_sel:WORD_1
	;; [unrolled: 1-line block ×4, first 2 shown]
	v_fmac_f16_e32 v10, v15, v8
	v_fmac_f16_e32 v11, v21, v7
	v_fma_f16 v7, v20, v7, -v12
	v_fma_f16 v8, v14, v8, -v13
	v_add_f16_e32 v12, v11, v10
	v_add_f16_e32 v13, v17, v11
	;; [unrolled: 1-line block ×4, first 2 shown]
	v_sub_f16_e32 v7, v7, v8
	v_fmac_f16_e32 v17, -0.5, v12
	v_sub_f16_e32 v11, v11, v10
	v_fmac_f16_e32 v4, -0.5, v14
	v_add_f16_e32 v10, v13, v10
	v_add_f16_e32 v8, v15, v8
	v_fmamk_f16 v12, v7, 0x3aee, v17
	v_fmac_f16_e32 v17, 0xbaee, v7
	v_fmamk_f16 v7, v11, 0xbaee, v4
	v_fmac_f16_e32 v4, 0x3aee, v11
	v_add_nc_u32_e32 v11, 0x1a00, v9
	v_pack_b32_f16 v8, v8, v10
	v_pack_b32_f16 v7, v7, v12
	;; [unrolled: 1-line block ×3, first 2 shown]
	ds_write2_b32 v11, v8, v4 offset0:118 offset1:184
	ds_write_b32 v9, v7 offset:7656
.LBB0_23:
	s_or_b32 exec_lo, exec_lo, s1
	v_lshlrev_b32_e32 v7, 2, v3
	v_mov_b32_e32 v8, 0
	s_waitcnt lgkmcnt(0)
	s_barrier
	buffer_gl0_inv
	v_add_nc_u32_e32 v30, 0x600, v0
	v_lshlrev_b64 v[9:10], 2, v[7:8]
	v_add_nc_u32_e32 v33, 0x1800, v0
	v_add_nc_u32_e32 v31, 0xc00, v0
	;; [unrolled: 1-line block ×3, first 2 shown]
	ds_read2_b32 v[14:15], v0 offset1:198
	v_mov_b32_e32 v4, v8
	v_add_co_u32 v9, s0, s12, v9
	v_add_co_ci_u32_e64 v10, s0, s13, v10, s0
	s_add_u32 s1, s12, 0x1ec4
	s_addc_u32 s4, s13, 0
	s_mov_b32 s5, exec_lo
	global_load_dwordx4 v[10:13], v[9:10], off offset:748
	ds_read2_b32 v[16:17], v30 offset0:12 offset1:210
	ds_read2_b32 v[18:19], v31 offset0:24 offset1:222
	;; [unrolled: 1-line block ×4, first 2 shown]
	v_lshlrev_b64 v[8:9], 2, v[3:4]
	s_waitcnt vmcnt(0) lgkmcnt(0)
	s_barrier
	buffer_gl0_inv
	v_add_co_u32 v4, s0, s12, v8
	v_add_co_ci_u32_e64 v29, s0, s13, v9, s0
	v_lshrrev_b32_e32 v34, 16, v14
	v_add_co_u32 v24, s0, 0x800, v4
	v_add_co_ci_u32_e64 v25, s0, 0, v29, s0
	v_add_co_u32 v26, s0, 0x1000, v4
	v_lshrrev_b32_e32 v38, 16, v16
	v_lshrrev_b32_e32 v39, 16, v18
	;; [unrolled: 1-line block ×4, first 2 shown]
	v_add_co_ci_u32_e64 v27, s0, 0, v29, s0
	v_add_co_u32 v28, s0, 0x1800, v4
	v_lshrrev_b32_e32 v4, 16, v19
	v_lshrrev_b32_e32 v36, 16, v21
	;; [unrolled: 1-line block ×5, first 2 shown]
	v_add_co_ci_u32_e64 v29, s0, 0, v29, s0
	v_mul_f16_sdwa v43, v10, v38 dst_sel:DWORD dst_unused:UNUSED_PAD src0_sel:WORD_1 src1_sel:DWORD
	v_mul_f16_sdwa v44, v10, v16 dst_sel:DWORD dst_unused:UNUSED_PAD src0_sel:WORD_1 src1_sel:DWORD
	;; [unrolled: 1-line block ×10, first 2 shown]
	v_mul_f16_sdwa v53, v4, v11 dst_sel:DWORD dst_unused:UNUSED_PAD src0_sel:DWORD src1_sel:WORD_1
	v_mul_f16_sdwa v54, v19, v11 dst_sel:DWORD dst_unused:UNUSED_PAD src0_sel:DWORD src1_sel:WORD_1
	;; [unrolled: 1-line block ×6, first 2 shown]
	v_fma_f16 v16, v10, v16, -v43
	v_fmac_f16_e32 v44, v10, v38
	v_fma_f16 v18, v11, v18, -v45
	v_fmac_f16_e32 v46, v11, v39
	;; [unrolled: 2-line block ×8, first 2 shown]
	v_add_f16_e32 v12, v14, v16
	v_add_f16_e32 v13, v18, v20
	v_sub_f16_e32 v23, v16, v18
	v_sub_f16_e32 v36, v22, v20
	v_add_f16_e32 v37, v16, v22
	v_add_f16_e32 v40, v34, v44
	;; [unrolled: 1-line block ×4, first 2 shown]
	v_sub_f16_e32 v38, v18, v16
	v_sub_f16_e32 v39, v20, v22
	;; [unrolled: 1-line block ×4, first 2 shown]
	v_add_f16_e32 v51, v15, v17
	v_add_f16_e32 v53, v10, v4
	;; [unrolled: 1-line block ×5, first 2 shown]
	v_sub_f16_e32 v19, v44, v50
	v_sub_f16_e32 v16, v16, v22
	;; [unrolled: 1-line block ×5, first 2 shown]
	v_add_f16_e32 v64, v35, v52
	v_add_f16_e32 v12, v12, v18
	v_fma_f16 v13, -0.5, v13, v14
	v_add_f16_e32 v18, v23, v36
	v_fma_f16 v14, -0.5, v37, v14
	;; [unrolled: 2-line block ×3, first 2 shown]
	v_sub_f16_e32 v21, v46, v48
	v_fmac_f16_e32 v34, -0.5, v47
	v_sub_f16_e32 v55, v52, v58
	v_sub_f16_e32 v57, v54, v56
	;; [unrolled: 1-line block ×9, first 2 shown]
	v_add_f16_e32 v23, v38, v39
	v_add_f16_e32 v38, v43, v45
	v_add_f16_e32 v10, v51, v10
	v_fma_f16 v40, -0.5, v53, v15
	v_fmac_f16_e32 v15, -0.5, v61
	v_fma_f16 v45, -0.5, v65, v35
	v_fmac_f16_e32 v35, -0.5, v69
	v_add_f16_e32 v39, v44, v49
	v_add_f16_e32 v44, v64, v54
	;; [unrolled: 1-line block ×3, first 2 shown]
	v_fmamk_f16 v20, v19, 0x3b9c, v13
	v_add_f16_e32 v36, v36, v48
	v_fmamk_f16 v48, v16, 0xbb9c, v37
	v_fmamk_f16 v49, v21, 0xbb9c, v14
	v_fmac_f16_e32 v14, 0x3b9c, v21
	v_fmamk_f16 v51, v42, 0x3b9c, v34
	v_fmac_f16_e32 v34, 0xbb9c, v42
	v_fmac_f16_e32 v13, 0xbb9c, v19
	;; [unrolled: 1-line block ×3, first 2 shown]
	v_sub_f16_e32 v60, v11, v4
	v_sub_f16_e32 v63, v4, v11
	;; [unrolled: 1-line block ×3, first 2 shown]
	v_add_f16_e32 v47, v52, v70
	v_add_f16_e32 v4, v10, v4
	v_fmamk_f16 v10, v55, 0x3b9c, v40
	v_fmamk_f16 v52, v57, 0xbb9c, v15
	;; [unrolled: 1-line block ×4, first 2 shown]
	v_fmac_f16_e32 v40, 0xbb9c, v55
	v_fmac_f16_e32 v15, 0x3b9c, v57
	;; [unrolled: 1-line block ×4, first 2 shown]
	v_add_f16_e32 v44, v44, v56
	v_fmac_f16_e32 v20, 0x38b4, v21
	v_fmac_f16_e32 v48, 0xb8b4, v42
	;; [unrolled: 1-line block ×8, first 2 shown]
	v_add_f16_e32 v41, v59, v60
	v_add_f16_e32 v43, v62, v63
	;; [unrolled: 1-line block ×3, first 2 shown]
	v_fmac_f16_e32 v10, 0x38b4, v57
	v_fmac_f16_e32 v52, 0x38b4, v55
	;; [unrolled: 1-line block ×8, first 2 shown]
	v_add_f16_e32 v12, v12, v22
	v_add_f16_e32 v19, v36, v50
	;; [unrolled: 1-line block ×4, first 2 shown]
	v_fmac_f16_e32 v20, 0x34f2, v18
	v_fmac_f16_e32 v48, 0x34f2, v38
	;; [unrolled: 1-line block ×16, first 2 shown]
	v_pack_b32_f16 v12, v12, v19
	v_pack_b32_f16 v4, v4, v11
	;; [unrolled: 1-line block ×10, first 2 shown]
	ds_write2_b32 v0, v12, v11 offset1:198
	ds_write2_b32 v30, v16, v14 offset0:12 offset1:210
	ds_write2_b32 v31, v13, v4 offset0:24 offset1:222
	;; [unrolled: 1-line block ×4, first 2 shown]
	s_waitcnt lgkmcnt(0)
	s_barrier
	buffer_gl0_inv
	s_clause 0x4
	global_load_dword v4, v[24:25], off offset:1868
	global_load_dword v20, v[26:27], off offset:612
	;; [unrolled: 1-line block ×5, first 2 shown]
	ds_read2_b32 v[10:11], v31 offset0:24 offset1:222
	ds_read2_b32 v[12:13], v32 offset0:36 offset1:234
	;; [unrolled: 1-line block ×3, first 2 shown]
	ds_read2_b32 v[16:17], v0 offset1:198
	ds_read2_b32 v[18:19], v30 offset0:12 offset1:210
	s_waitcnt vmcnt(0) lgkmcnt(0)
	s_barrier
	buffer_gl0_inv
	v_pk_mul_f16 v24, v4, v11 op_sel:[0,1]
	v_pk_mul_f16 v25, v20, v12 op_sel:[0,1]
	;; [unrolled: 1-line block ×5, first 2 shown]
	v_pk_fma_f16 v29, v4, v11, v24 op_sel:[0,0,1] op_sel_hi:[1,1,0] neg_lo:[0,0,1] neg_hi:[0,0,1]
	v_pk_fma_f16 v4, v4, v11, v24 op_sel:[0,0,1] op_sel_hi:[1,0,0]
	v_pk_fma_f16 v11, v20, v12, v25 op_sel:[0,0,1] op_sel_hi:[1,1,0] neg_lo:[0,0,1] neg_hi:[0,0,1]
	v_pk_fma_f16 v12, v20, v12, v25 op_sel:[0,0,1] op_sel_hi:[1,0,0]
	;; [unrolled: 2-line block ×5, first 2 shown]
	v_bfi_b32 v4, 0xffff, v29, v4
	v_bfi_b32 v11, 0xffff, v11, v12
	;; [unrolled: 1-line block ×5, first 2 shown]
	v_pk_add_f16 v4, v16, v4 neg_lo:[0,1] neg_hi:[0,1]
	v_pk_add_f16 v11, v17, v11 neg_lo:[0,1] neg_hi:[0,1]
	;; [unrolled: 1-line block ×5, first 2 shown]
	v_pk_fma_f16 v15, v16, 2.0, v4 op_sel_hi:[1,0,1] neg_lo:[0,0,1] neg_hi:[0,0,1]
	v_pk_fma_f16 v16, v17, 2.0, v11 op_sel_hi:[1,0,1] neg_lo:[0,0,1] neg_hi:[0,0,1]
	;; [unrolled: 1-line block ×5, first 2 shown]
	ds_write2_b32 v32, v11, v12 offset0:36 offset1:234
	ds_write2_b32 v33, v13, v14 offset0:48 offset1:246
	ds_write2_b32 v0, v15, v16 offset1:198
	ds_write2_b32 v30, v17, v18 offset0:12 offset1:210
	ds_write2_b32 v31, v10, v4 offset0:24 offset1:222
	s_waitcnt lgkmcnt(0)
	s_barrier
	buffer_gl0_inv
	ds_read_b32 v12, v0
	v_sub_nc_u32_e32 v4, 0, v7
                                        ; implicit-def: $vgpr11
                                        ; implicit-def: $vgpr7
                                        ; implicit-def: $vgpr10
	v_cmpx_ne_u32_e32 0, v3
	s_xor_b32 s5, exec_lo, s5
	s_cbranch_execz .LBB0_25
; %bb.24:
	v_add_co_u32 v10, s0, s1, v8
	v_add_co_ci_u32_e64 v11, s0, s4, v9, s0
	global_load_dword v7, v[10:11], off
	ds_read_b32 v10, v4 offset:7920
	s_waitcnt lgkmcnt(0)
	v_pk_add_f16 v11, v12, v10 neg_lo:[0,1] neg_hi:[0,1]
	v_pk_add_f16 v10, v10, v12
	v_bfi_b32 v12, 0xffff, v11, v10
	v_bfi_b32 v10, 0xffff, v10, v11
	v_pk_mul_f16 v12, v12, 0.5 op_sel_hi:[1,0]
	v_pk_mul_f16 v13, v10, 0.5 op_sel_hi:[1,0]
	s_waitcnt vmcnt(0)
	v_pk_mul_f16 v11, v7, v12 op_sel:[1,0]
	v_pk_mul_f16 v12, v7, v12 op_sel_hi:[0,1]
	v_pk_fma_f16 v7, v10, 0.5, v11 op_sel_hi:[1,0,1]
	v_sub_f16_e32 v10, v13, v11
	v_sub_f16_sdwa v13, v11, v13 dst_sel:DWORD dst_unused:UNUSED_PAD src0_sel:WORD_1 src1_sel:WORD_1
	v_pk_add_f16 v14, v7, v12 op_sel:[0,1] op_sel_hi:[1,0]
	v_pk_add_f16 v15, v7, v12 op_sel:[0,1] op_sel_hi:[1,0] neg_lo:[0,1] neg_hi:[0,1]
	v_sub_f16_sdwa v7, v10, v12 dst_sel:DWORD dst_unused:UNUSED_PAD src0_sel:DWORD src1_sel:WORD_1
	v_sub_f16_e32 v10, v13, v12
                                        ; implicit-def: $vgpr12
	v_bfi_b32 v11, 0xffff, v14, v15
.LBB0_25:
	s_andn2_saveexec_b32 s0, s5
	s_cbranch_execz .LBB0_27
; %bb.26:
	v_mov_b32_e32 v10, 0
	s_waitcnt lgkmcnt(0)
	v_alignbit_b32 v7, s0, v12, 16
	ds_read_u16 v11, v10 offset:3962
	v_pk_add_f16 v13, v7, v12
	v_sub_f16_sdwa v7, v12, v12 dst_sel:DWORD dst_unused:UNUSED_PAD src0_sel:DWORD src1_sel:WORD_1
	s_waitcnt lgkmcnt(0)
	v_xor_b32_e32 v12, 0x8000, v11
	v_pack_b32_f16 v11, v13, 0
	ds_write_b16 v10, v12 offset:3962
.LBB0_27:
	s_or_b32 exec_lo, exec_lo, s0
	v_add_co_u32 v8, s0, s1, v8
	v_add_co_ci_u32_e64 v9, s0, s4, v9, s0
	s_waitcnt lgkmcnt(0)
	s_clause 0x1
	global_load_dword v12, v[8:9], off offset:792
	global_load_dword v13, v[8:9], off offset:1584
	v_add_co_u32 v8, s0, 0x800, v8
	v_add_co_ci_u32_e64 v9, s0, 0, v9, s0
	s_clause 0x1
	global_load_dword v14, v[8:9], off offset:328
	global_load_dword v8, v[8:9], off offset:1120
	ds_write_b16 v4, v10 offset:7922
	ds_write_b32 v0, v11
	ds_write_b16 v4, v7 offset:7920
	ds_read_b32 v7, v0 offset:792
	ds_read_b32 v9, v4 offset:7128
	s_waitcnt lgkmcnt(0)
	v_pk_add_f16 v10, v7, v9 neg_lo:[0,1] neg_hi:[0,1]
	v_pk_add_f16 v7, v7, v9
	v_bfi_b32 v9, 0xffff, v10, v7
	v_bfi_b32 v7, 0xffff, v7, v10
	v_pk_mul_f16 v9, v9, 0.5 op_sel_hi:[1,0]
	v_pk_mul_f16 v11, v7, 0.5 op_sel_hi:[1,0]
	s_waitcnt vmcnt(3)
	v_pk_mul_f16 v10, v12, v9 op_sel:[1,0]
	v_pk_mul_f16 v9, v12, v9 op_sel_hi:[0,1]
	v_pk_fma_f16 v7, v7, 0.5, v10 op_sel_hi:[1,0,1]
	v_sub_f16_sdwa v12, v10, v11 dst_sel:DWORD dst_unused:UNUSED_PAD src0_sel:WORD_1 src1_sel:WORD_1
	v_sub_f16_e32 v10, v11, v10
	v_pk_add_f16 v15, v7, v9 op_sel:[0,1] op_sel_hi:[1,0]
	v_pk_add_f16 v7, v7, v9 op_sel:[0,1] op_sel_hi:[1,0] neg_lo:[0,1] neg_hi:[0,1]
	v_sub_f16_e32 v11, v12, v9
	v_sub_f16_sdwa v9, v10, v9 dst_sel:DWORD dst_unused:UNUSED_PAD src0_sel:DWORD src1_sel:WORD_1
	v_bfi_b32 v7, 0xffff, v15, v7
	ds_write_b16 v4, v11 offset:7130
	ds_write_b32 v0, v7 offset:792
	ds_write_b16 v4, v9 offset:7128
	ds_read_b32 v7, v0 offset:1584
	ds_read_b32 v9, v4 offset:6336
	s_waitcnt lgkmcnt(0)
	v_pk_add_f16 v10, v7, v9 neg_lo:[0,1] neg_hi:[0,1]
	v_pk_add_f16 v7, v7, v9
	v_bfi_b32 v9, 0xffff, v10, v7
	v_bfi_b32 v7, 0xffff, v7, v10
	v_pk_mul_f16 v9, v9, 0.5 op_sel_hi:[1,0]
	v_pk_mul_f16 v11, v7, 0.5 op_sel_hi:[1,0]
	s_waitcnt vmcnt(2)
	v_pk_mul_f16 v10, v13, v9 op_sel:[1,0]
	v_pk_mul_f16 v9, v13, v9 op_sel_hi:[0,1]
	v_pk_fma_f16 v7, v7, 0.5, v10 op_sel_hi:[1,0,1]
	v_sub_f16_sdwa v12, v10, v11 dst_sel:DWORD dst_unused:UNUSED_PAD src0_sel:WORD_1 src1_sel:WORD_1
	v_sub_f16_e32 v10, v11, v10
	v_pk_add_f16 v13, v7, v9 op_sel:[0,1] op_sel_hi:[1,0]
	v_pk_add_f16 v7, v7, v9 op_sel:[0,1] op_sel_hi:[1,0] neg_lo:[0,1] neg_hi:[0,1]
	v_sub_f16_e32 v11, v12, v9
	v_sub_f16_sdwa v9, v10, v9 dst_sel:DWORD dst_unused:UNUSED_PAD src0_sel:DWORD src1_sel:WORD_1
	v_bfi_b32 v7, 0xffff, v13, v7
	ds_write_b16 v4, v11 offset:6338
	ds_write_b32 v0, v7 offset:1584
	;; [unrolled: 23-line block ×3, first 2 shown]
	ds_write_b16 v4, v9 offset:5544
	ds_read_b32 v7, v0 offset:3168
	ds_read_b32 v9, v4 offset:4752
	s_waitcnt lgkmcnt(0)
	v_pk_add_f16 v10, v7, v9 neg_lo:[0,1] neg_hi:[0,1]
	v_pk_add_f16 v7, v7, v9
	v_bfi_b32 v9, 0xffff, v10, v7
	v_bfi_b32 v7, 0xffff, v7, v10
	v_pk_mul_f16 v9, v9, 0.5 op_sel_hi:[1,0]
	v_pk_mul_f16 v7, v7, 0.5 op_sel_hi:[1,0]
	s_waitcnt vmcnt(0)
	v_pk_mul_f16 v11, v8, v9 op_sel_hi:[0,1]
	v_pk_fma_f16 v10, v8, v9, v7 op_sel:[1,0,0]
	v_pk_fma_f16 v12, v8, v9, v7 op_sel:[1,0,0] neg_lo:[1,0,0] neg_hi:[1,0,0]
	v_pk_fma_f16 v7, v8, v9, v7 op_sel:[1,0,0] neg_lo:[0,0,1] neg_hi:[0,0,1]
	v_pk_add_f16 v8, v10, v11 op_sel:[0,1] op_sel_hi:[1,0]
	v_pk_add_f16 v9, v10, v11 op_sel:[0,1] op_sel_hi:[1,0] neg_lo:[0,1] neg_hi:[0,1]
	v_pk_add_f16 v10, v12, v11 op_sel:[0,1] op_sel_hi:[1,0] neg_lo:[0,1] neg_hi:[0,1]
	;; [unrolled: 1-line block ×3, first 2 shown]
	v_bfi_b32 v8, 0xffff, v8, v9
	v_bfi_b32 v7, 0xffff, v10, v7
	ds_write_b32 v0, v8 offset:3168
	ds_write_b32 v4, v7 offset:4752
	s_waitcnt lgkmcnt(0)
	s_barrier
	buffer_gl0_inv
	s_and_saveexec_b32 s0, vcc_lo
	s_cbranch_execz .LBB0_30
; %bb.28:
	v_mul_lo_u32 v0, s3, v5
	v_mul_lo_u32 v7, s2, v6
	v_mad_u64_u32 v[5:6], null, s2, v5, 0
	v_lshl_add_u32 v17, v3, 2, 0
	v_mov_b32_e32 v4, 0
	v_add_nc_u32_e32 v9, 0x18c, v3
	v_add_nc_u32_e32 v15, 0x318, v3
	ds_read2_b32 v[11:12], v17 offset1:198
	v_add3_u32 v6, v6, v7, v0
	v_lshlrev_b64 v[0:1], 2, v[1:2]
	v_add_nc_u32_e32 v7, 0xc6, v3
	v_mov_b32_e32 v8, v4
	v_lshlrev_b64 v[13:14], 2, v[3:4]
	v_lshlrev_b64 v[5:6], 2, v[5:6]
	v_mov_b32_e32 v10, v4
	v_mov_b32_e32 v16, v4
	v_lshlrev_b64 v[7:8], 2, v[7:8]
	v_add_co_u32 v2, vcc_lo, s10, v5
	v_add_co_ci_u32_e32 v5, vcc_lo, s11, v6, vcc_lo
	v_add_nc_u32_e32 v6, 0x600, v17
	v_add_co_u32 v0, vcc_lo, v2, v0
	v_add_co_ci_u32_e32 v1, vcc_lo, v5, v1, vcc_lo
	ds_read2_b32 v[5:6], v6 offset0:12 offset1:210
	v_add_co_u32 v13, vcc_lo, v0, v13
	v_lshlrev_b64 v[9:10], 2, v[9:10]
	v_add_co_ci_u32_e32 v14, vcc_lo, v1, v14, vcc_lo
	v_add_co_u32 v7, vcc_lo, v0, v7
	v_add_co_ci_u32_e32 v8, vcc_lo, v1, v8, vcc_lo
	v_add_co_u32 v9, vcc_lo, v0, v9
	v_add_co_ci_u32_e32 v10, vcc_lo, v1, v10, vcc_lo
	v_add_nc_u32_e32 v2, 0xc00, v17
	s_waitcnt lgkmcnt(1)
	global_store_dword v[13:14], v11, off
	v_add_nc_u32_e32 v13, 0x252, v3
	v_mov_b32_e32 v14, v4
	global_store_dword v[7:8], v12, off
	s_waitcnt lgkmcnt(0)
	global_store_dword v[9:10], v5, off
	ds_read2_b32 v[9:10], v2 offset0:24 offset1:222
	v_lshlrev_b64 v[11:12], 2, v[15:16]
	v_lshlrev_b64 v[7:8], 2, v[13:14]
	v_add_nc_u32_e32 v13, 0x3de, v3
	v_add_nc_u32_e32 v15, 0x4a4, v3
	;; [unrolled: 1-line block ×3, first 2 shown]
	v_add_co_u32 v7, vcc_lo, v0, v7
	v_lshlrev_b64 v[13:14], 2, v[13:14]
	v_add_co_ci_u32_e32 v8, vcc_lo, v1, v8, vcc_lo
	v_add_co_u32 v11, vcc_lo, v0, v11
	v_add_co_ci_u32_e32 v12, vcc_lo, v1, v12, vcc_lo
	v_add_co_u32 v13, vcc_lo, v0, v13
	v_add_co_ci_u32_e32 v14, vcc_lo, v1, v14, vcc_lo
	global_store_dword v[7:8], v6, off
	s_waitcnt lgkmcnt(0)
	global_store_dword v[11:12], v9, off
	global_store_dword v[13:14], v10, off
	v_add_nc_u32_e32 v9, 0x56a, v3
	v_mov_b32_e32 v10, v4
	ds_read2_b32 v[5:6], v2 offset0:36 offset1:234
	v_lshlrev_b64 v[7:8], 2, v[15:16]
	v_add_nc_u32_e32 v2, 0x1800, v17
	v_add_nc_u32_e32 v11, 0x630, v3
	v_mov_b32_e32 v12, v4
	v_lshlrev_b64 v[9:10], 2, v[9:10]
	v_add_nc_u32_e32 v15, 0x6f6, v3
	ds_read2_b32 v[13:14], v2 offset0:48 offset1:246
	v_add_co_u32 v7, vcc_lo, v0, v7
	v_lshlrev_b64 v[11:12], 2, v[11:12]
	v_add_co_ci_u32_e32 v8, vcc_lo, v1, v8, vcc_lo
	v_add_co_u32 v9, vcc_lo, v0, v9
	v_lshlrev_b64 v[15:16], 2, v[15:16]
	v_add_co_ci_u32_e32 v10, vcc_lo, v1, v10, vcc_lo
	v_add_co_u32 v11, vcc_lo, v0, v11
	v_add_co_ci_u32_e32 v12, vcc_lo, v1, v12, vcc_lo
	v_add_co_u32 v15, vcc_lo, v0, v15
	v_add_co_ci_u32_e32 v16, vcc_lo, v1, v16, vcc_lo
	v_cmp_eq_u32_e32 vcc_lo, 0xc5, v3
	s_waitcnt lgkmcnt(1)
	global_store_dword v[7:8], v5, off
	global_store_dword v[9:10], v6, off
	s_waitcnt lgkmcnt(0)
	global_store_dword v[11:12], v13, off
	global_store_dword v[15:16], v14, off
	s_and_b32 exec_lo, exec_lo, vcc_lo
	s_cbranch_execz .LBB0_30
; %bb.29:
	ds_read_b32 v2, v4 offset:7920
	v_add_co_u32 v0, vcc_lo, 0x1800, v0
	v_add_co_ci_u32_e32 v1, vcc_lo, 0, v1, vcc_lo
	s_waitcnt lgkmcnt(0)
	global_store_dword v[0:1], v2, off offset:1776
.LBB0_30:
	s_endpgm
	.section	.rodata,"a",@progbits
	.p2align	6, 0x0
	.amdhsa_kernel fft_rtc_fwd_len1980_factors_11_2_3_3_5_2_wgs_198_tpt_198_halfLds_half_op_CI_CI_unitstride_sbrr_R2C_dirReg
		.amdhsa_group_segment_fixed_size 0
		.amdhsa_private_segment_fixed_size 0
		.amdhsa_kernarg_size 104
		.amdhsa_user_sgpr_count 6
		.amdhsa_user_sgpr_private_segment_buffer 1
		.amdhsa_user_sgpr_dispatch_ptr 0
		.amdhsa_user_sgpr_queue_ptr 0
		.amdhsa_user_sgpr_kernarg_segment_ptr 1
		.amdhsa_user_sgpr_dispatch_id 0
		.amdhsa_user_sgpr_flat_scratch_init 0
		.amdhsa_user_sgpr_private_segment_size 0
		.amdhsa_wavefront_size32 1
		.amdhsa_uses_dynamic_stack 0
		.amdhsa_system_sgpr_private_segment_wavefront_offset 0
		.amdhsa_system_sgpr_workgroup_id_x 1
		.amdhsa_system_sgpr_workgroup_id_y 0
		.amdhsa_system_sgpr_workgroup_id_z 0
		.amdhsa_system_sgpr_workgroup_info 0
		.amdhsa_system_vgpr_workitem_id 0
		.amdhsa_next_free_vgpr 71
		.amdhsa_next_free_sgpr 27
		.amdhsa_reserve_vcc 1
		.amdhsa_reserve_flat_scratch 0
		.amdhsa_float_round_mode_32 0
		.amdhsa_float_round_mode_16_64 0
		.amdhsa_float_denorm_mode_32 3
		.amdhsa_float_denorm_mode_16_64 3
		.amdhsa_dx10_clamp 1
		.amdhsa_ieee_mode 1
		.amdhsa_fp16_overflow 0
		.amdhsa_workgroup_processor_mode 1
		.amdhsa_memory_ordered 1
		.amdhsa_forward_progress 0
		.amdhsa_shared_vgpr_count 0
		.amdhsa_exception_fp_ieee_invalid_op 0
		.amdhsa_exception_fp_denorm_src 0
		.amdhsa_exception_fp_ieee_div_zero 0
		.amdhsa_exception_fp_ieee_overflow 0
		.amdhsa_exception_fp_ieee_underflow 0
		.amdhsa_exception_fp_ieee_inexact 0
		.amdhsa_exception_int_div_zero 0
	.end_amdhsa_kernel
	.text
.Lfunc_end0:
	.size	fft_rtc_fwd_len1980_factors_11_2_3_3_5_2_wgs_198_tpt_198_halfLds_half_op_CI_CI_unitstride_sbrr_R2C_dirReg, .Lfunc_end0-fft_rtc_fwd_len1980_factors_11_2_3_3_5_2_wgs_198_tpt_198_halfLds_half_op_CI_CI_unitstride_sbrr_R2C_dirReg
                                        ; -- End function
	.section	.AMDGPU.csdata,"",@progbits
; Kernel info:
; codeLenInByte = 10684
; NumSgprs: 29
; NumVgprs: 71
; ScratchSize: 0
; MemoryBound: 0
; FloatMode: 240
; IeeeMode: 1
; LDSByteSize: 0 bytes/workgroup (compile time only)
; SGPRBlocks: 3
; VGPRBlocks: 8
; NumSGPRsForWavesPerEU: 29
; NumVGPRsForWavesPerEU: 71
; Occupancy: 12
; WaveLimiterHint : 1
; COMPUTE_PGM_RSRC2:SCRATCH_EN: 0
; COMPUTE_PGM_RSRC2:USER_SGPR: 6
; COMPUTE_PGM_RSRC2:TRAP_HANDLER: 0
; COMPUTE_PGM_RSRC2:TGID_X_EN: 1
; COMPUTE_PGM_RSRC2:TGID_Y_EN: 0
; COMPUTE_PGM_RSRC2:TGID_Z_EN: 0
; COMPUTE_PGM_RSRC2:TIDIG_COMP_CNT: 0
	.text
	.p2alignl 6, 3214868480
	.fill 48, 4, 3214868480
	.type	__hip_cuid_f84fa1972d04e5f3,@object ; @__hip_cuid_f84fa1972d04e5f3
	.section	.bss,"aw",@nobits
	.globl	__hip_cuid_f84fa1972d04e5f3
__hip_cuid_f84fa1972d04e5f3:
	.byte	0                               ; 0x0
	.size	__hip_cuid_f84fa1972d04e5f3, 1

	.ident	"AMD clang version 19.0.0git (https://github.com/RadeonOpenCompute/llvm-project roc-6.4.0 25133 c7fe45cf4b819c5991fe208aaa96edf142730f1d)"
	.section	".note.GNU-stack","",@progbits
	.addrsig
	.addrsig_sym __hip_cuid_f84fa1972d04e5f3
	.amdgpu_metadata
---
amdhsa.kernels:
  - .args:
      - .actual_access:  read_only
        .address_space:  global
        .offset:         0
        .size:           8
        .value_kind:     global_buffer
      - .offset:         8
        .size:           8
        .value_kind:     by_value
      - .actual_access:  read_only
        .address_space:  global
        .offset:         16
        .size:           8
        .value_kind:     global_buffer
      - .actual_access:  read_only
        .address_space:  global
        .offset:         24
        .size:           8
        .value_kind:     global_buffer
      - .actual_access:  read_only
        .address_space:  global
        .offset:         32
        .size:           8
        .value_kind:     global_buffer
      - .offset:         40
        .size:           8
        .value_kind:     by_value
      - .actual_access:  read_only
        .address_space:  global
        .offset:         48
        .size:           8
        .value_kind:     global_buffer
      - .actual_access:  read_only
        .address_space:  global
        .offset:         56
        .size:           8
        .value_kind:     global_buffer
      - .offset:         64
        .size:           4
        .value_kind:     by_value
      - .actual_access:  read_only
        .address_space:  global
        .offset:         72
        .size:           8
        .value_kind:     global_buffer
      - .actual_access:  read_only
        .address_space:  global
        .offset:         80
        .size:           8
        .value_kind:     global_buffer
      - .actual_access:  read_only
        .address_space:  global
        .offset:         88
        .size:           8
        .value_kind:     global_buffer
      - .actual_access:  write_only
        .address_space:  global
        .offset:         96
        .size:           8
        .value_kind:     global_buffer
    .group_segment_fixed_size: 0
    .kernarg_segment_align: 8
    .kernarg_segment_size: 104
    .language:       OpenCL C
    .language_version:
      - 2
      - 0
    .max_flat_workgroup_size: 198
    .name:           fft_rtc_fwd_len1980_factors_11_2_3_3_5_2_wgs_198_tpt_198_halfLds_half_op_CI_CI_unitstride_sbrr_R2C_dirReg
    .private_segment_fixed_size: 0
    .sgpr_count:     29
    .sgpr_spill_count: 0
    .symbol:         fft_rtc_fwd_len1980_factors_11_2_3_3_5_2_wgs_198_tpt_198_halfLds_half_op_CI_CI_unitstride_sbrr_R2C_dirReg.kd
    .uniform_work_group_size: 1
    .uses_dynamic_stack: false
    .vgpr_count:     71
    .vgpr_spill_count: 0
    .wavefront_size: 32
    .workgroup_processor_mode: 1
amdhsa.target:   amdgcn-amd-amdhsa--gfx1030
amdhsa.version:
  - 1
  - 2
...

	.end_amdgpu_metadata
